;; amdgpu-corpus repo=zjin-lcf/HeCBench kind=compiled arch=gfx1250 opt=O3
	.amdgcn_target "amdgcn-amd-amdhsa--gfx1250"
	.amdhsa_code_object_version 6
	.text
	.protected	_Z8d2q9_bgkPKfS0_S0_S0_S0_S0_S0_S0_S0_PfS1_S1_S1_S1_S1_S1_S1_S1_PKiS1_Piffiii ; -- Begin function _Z8d2q9_bgkPKfS0_S0_S0_S0_S0_S0_S0_S0_PfS1_S1_S1_S1_S1_S1_S1_S1_PKiS1_Piffiii
	.globl	_Z8d2q9_bgkPKfS0_S0_S0_S0_S0_S0_S0_S0_PfS1_S1_S1_S1_S1_S1_S1_S1_PKiS1_Piffiii
	.p2align	8
	.type	_Z8d2q9_bgkPKfS0_S0_S0_S0_S0_S0_S0_S0_PfS1_S1_S1_S1_S1_S1_S1_S1_PKiS1_Piffiii,@function
_Z8d2q9_bgkPKfS0_S0_S0_S0_S0_S0_S0_S0_PfS1_S1_S1_S1_S1_S1_S1_S1_PKiS1_Piffiii: ; @_Z8d2q9_bgkPKfS0_S0_S0_S0_S0_S0_S0_S0_PfS1_S1_S1_S1_S1_S1_S1_S1_PKiS1_Piffiii
; %bb.0:
	s_load_b32 s2, s[0:1], 0xcc
	s_bfe_u32 s4, ttmp6, 0x4000c
	s_bfe_u32 s5, ttmp6, 0x40010
	s_load_b128 s[20:23], s[0:1], 0xa8
	s_add_co_i32 s4, s4, 1
	s_add_co_i32 s5, s5, 1
	s_and_b32 s3, ttmp6, 15
	s_bfe_u32 s6, ttmp6, 0x40004
	s_mul_i32 s4, ttmp9, s4
	s_mul_i32 s5, ttmp7, s5
	s_getreg_b32 s7, hwreg(HW_REG_IB_STS2, 6, 4)
	s_add_co_i32 s4, s3, s4
	s_add_co_i32 s6, s6, s5
	v_bfe_u32 v18, v0, 10, 10
	v_and_b32_e32 v19, 0x3ff, v0
	s_mov_b32 s15, 0
	s_mov_b32 s34, 0
                                        ; implicit-def: $vgpr8_vgpr9
	s_wait_kmcnt 0x0
	s_lshr_b32 s30, s2, 16
	s_and_b32 s31, s2, 0xffff
	s_cmp_eq_u32 s7, 0
	s_load_b64 s[2:3], s[0:1], 0x0
	s_cselect_b32 s28, ttmp7, s6
	s_cselect_b32 s29, ttmp9, s4
	v_mad_u32 v3, s28, s30, v18
	v_mad_u32 v1, s29, s31, v19
	s_abs_i32 s19, s22
	s_abs_i32 s18, s23
	s_add_co_i32 s17, s23, -2
	s_sub_co_i32 s35, 0, s18
	s_delay_alu instid0(VALU_DEP_2) | instskip(NEXT) | instid1(VALU_DEP_2)
	v_mul_lo_u32 v4, v3, s22
	v_cmp_eq_u32_e32 vcc_lo, 0, v1
	v_add_nc_u32_e32 v14, 1, v1
	v_cndmask_b32_e64 v6, v1, s22, vcc_lo
	v_cmp_eq_u32_e32 vcc_lo, s17, v3
	v_add_nc_u32_e32 v0, v4, v1
	s_wait_kmcnt 0x0
	global_load_b32 v20, v0, s[2:3] scale_offset
	s_wait_xcnt 0x0
	s_cvt_f32_u32 s2, s19
	s_cvt_f32_u32 s3, s18
	s_delay_alu instid0(SALU_CYCLE_2) | instskip(NEXT) | instid1(SALU_CYCLE_2)
	v_rcp_iflag_f32_e32 v2, s2
	v_rcp_iflag_f32_e32 v5, s3
	s_delay_alu instid0(TRANS32_DEP_2) | instskip(NEXT) | instid1(TRANS32_DEP_1)
	v_readfirstlane_b32 s2, v2
	v_readfirstlane_b32 s3, v5
	v_sub_nc_u32_e32 v2, 0, v14
	s_mul_f32 s2, s2, 0x4f7ffffe
	s_mul_f32 s4, s3, 0x4f7ffffe
	s_delay_alu instid0(SALU_CYCLE_2) | instskip(SKIP_1) | instid1(SALU_CYCLE_1)
	s_cvt_u32_f32 s3, s2
	s_sub_co_i32 s2, 0, s19
	s_cvt_u32_f32 s33, s4
	s_delay_alu instid0(SALU_CYCLE_1) | instskip(SKIP_3) | instid1(SALU_CYCLE_1)
	s_mul_i32 s4, s2, s3
	v_cmp_ne_u32_e64 s2, s17, v3
	s_mul_hi_u32 s4, s3, s4
	s_and_saveexec_b32 s5, s2
	s_xor_b32 s2, exec_lo, s5
; %bb.1:
	v_dual_ashrrev_i32 v5, 31, v4 :: v_dual_ashrrev_i32 v7, 31, v6
	s_mov_b32 s34, exec_lo
	s_delay_alu instid0(VALU_DEP_1)
	v_add_nc_u64_e32 v[8:9], v[6:7], v[4:5]
; %bb.2:
	s_or_saveexec_b32 s5, s2
	s_clause 0x3
	s_load_b64 s[24:25], s[0:1], 0xc0
	s_load_b64 s[26:27], s[0:1], 0x90
	;; [unrolled: 1-line block ×3, first 2 shown]
	s_load_b128 s[8:11], s[0:1], 0x30
	v_dual_add_nc_u32 v17, 1, v3 :: v_dual_mov_b32 v11, 0
	v_max_i32_e32 v10, v14, v2
	s_mul_f32 s16, s20, 0x3de38e39
	s_mul_f32 s20, s20, 0x3ce38e39
	s_mul_i32 s35, s35, s33
	s_add_co_i32 s14, s3, s4
	s_mov_b32 s2, 0
	s_xor_b32 exec_lo, exec_lo, s5
	s_cbranch_execz .LBB0_10
; %bb.3:
	v_dual_ashrrev_i32 v5, 31, v4 :: v_dual_ashrrev_i32 v7, 31, v6
	s_mov_b32 s4, 0
	s_mov_b32 s6, exec_lo
	s_delay_alu instid0(VALU_DEP_1) | instskip(SKIP_1) | instid1(VALU_DEP_1)
	v_add_nc_u64_e32 v[8:9], v[6:7], v[4:5]
	s_wait_kmcnt 0x0
	v_lshl_add_u64 v[12:13], v[8:9], 2, s[26:27]
	global_load_b32 v2, v[12:13], off offset:-4
	s_wait_loadcnt 0x0
	v_cmp_ne_u32_e64 s2, 0, v2
	v_cmpx_eq_u32_e32 0, v2
	s_cbranch_execz .LBB0_9
; %bb.4:
	v_lshl_add_u64 v[12:13], v[8:9], 2, s[12:13]
	s_mov_b32 s36, 0
	s_mov_b32 s7, exec_lo
	global_load_b32 v2, v[12:13], off offset:-4
	s_wait_loadcnt 0x0
	v_cmp_nlt_f32_e64 s3, s16, v2
	v_cmpx_lt_f32_e32 s16, v2
	s_cbranch_execz .LBB0_8
; %bb.5:
	v_lshl_add_u64 v[12:13], v[8:9], 2, s[8:9]
	s_mov_b32 s37, 0
	s_mov_b32 s38, exec_lo
	global_load_b32 v2, v[12:13], off offset:-4
	s_wait_loadcnt 0x0
	v_cmp_nlt_f32_e64 s36, s20, v2
	v_cmpx_lt_f32_e32 s20, v2
	s_cbranch_execz .LBB0_7
; %bb.6:
	v_lshl_add_u64 v[12:13], v[8:9], 2, s[10:11]
	s_and_not1_b32 s36, s36, exec_lo
	s_mov_b32 s37, exec_lo
	global_load_b32 v2, v[12:13], off offset:-4
	s_wait_loadcnt 0x0
	v_cmp_nlt_f32_e64 s4, s20, v2
	s_and_b32 s4, s4, exec_lo
	s_delay_alu instid0(SALU_CYCLE_1)
	s_or_b32 s36, s36, s4
.LBB0_7:
	s_or_b32 exec_lo, exec_lo, s38
	s_delay_alu instid0(SALU_CYCLE_1)
	s_and_not1_b32 s3, s3, exec_lo
	s_and_b32 s4, s36, exec_lo
	s_and_b32 s36, s37, exec_lo
	s_or_b32 s3, s3, s4
.LBB0_8:
	s_or_b32 exec_lo, exec_lo, s7
	s_delay_alu instid0(SALU_CYCLE_1)
	s_and_not1_b32 s2, s2, exec_lo
	s_and_b32 s3, s3, exec_lo
	s_and_b32 s4, s36, exec_lo
	s_or_b32 s2, s2, s3
.LBB0_9:
	s_or_b32 exec_lo, exec_lo, s6
	s_delay_alu instid0(SALU_CYCLE_1)
	s_and_not1_b32 s3, s34, exec_lo
	s_and_b32 s6, s2, exec_lo
	s_and_b32 s2, s4, exec_lo
	s_or_b32 s34, s3, s6
.LBB0_10:
	s_or_b32 exec_lo, exec_lo, s5
	s_load_b128 s[4:7], s[0:1], 0x8
	v_sub_nc_u32_e32 v5, 0, v17
	s_mul_hi_u32 s3, s33, s35
                                        ; implicit-def: $vgpr2
	s_and_saveexec_b32 s35, s34
	s_cbranch_execz .LBB0_12
; %bb.11:
	s_wait_kmcnt 0x0
	v_lshl_add_u64 v[12:13], v[8:9], 2, s[4:5]
	s_and_not1_b32 s2, s2, exec_lo
	global_load_b32 v2, v[12:13], off offset:-4
.LBB0_12:
	s_wait_xcnt 0x0
	s_or_b32 exec_lo, exec_lo, s35
	v_mul_u64_e32 v[12:13], s[14:15], v[10:11]
	v_dual_ashrrev_i32 v5, 31, v14 :: v_dual_max_i32 v12, v17, v5
	s_add_co_i32 s14, s33, s3
	s_and_saveexec_b32 s3, s2
	s_cbranch_execz .LBB0_14
; %bb.13:
	s_wait_kmcnt 0x0
	v_lshl_add_u64 v[8:9], v[8:9], 2, s[4:5]
	s_wait_loadcnt 0x0
	global_load_b32 v2, v[8:9], off offset:-4
	s_wait_loadcnt 0x0
	v_add_f32_e32 v2, s16, v2
.LBB0_14:
	s_or_b32 exec_lo, exec_lo, s3
	v_cmp_eq_u32_e64 s2, 0, v3
	s_delay_alu instid0(VALU_DEP_3) | instskip(SKIP_4) | instid1(VALU_DEP_1)
	v_mul_lo_u32 v9, v13, s19
	s_wait_kmcnt 0x0
	s_load_b64 s[4:5], s[0:1], 0x20
	v_mov_b32_e32 v13, v11
	v_cndmask_b32_e64 v3, v3, s23, s2
	v_dual_add_nc_u32 v7, -1, v3 :: v_dual_sub_nc_u32 v9, v10, v9
	s_delay_alu instid0(VALU_DEP_1) | instskip(NEXT) | instid1(VALU_DEP_2)
	v_mul_lo_u32 v8, v7, s22
	v_subrev_nc_u32_e32 v10, s19, v9
	v_cmp_le_u32_e64 s2, s19, v9
	s_delay_alu instid0(VALU_DEP_1) | instskip(NEXT) | instid1(VALU_DEP_1)
	v_dual_cndmask_b32 v9, v9, v10, s2 :: v_dual_add_nc_u32 v3, v8, v1
	v_subrev_nc_u32_e32 v10, s19, v9
	v_cmp_le_u32_e64 s2, s19, v9
	global_load_b32 v3, v3, s[6:7] scale_offset
	v_cndmask_b32_e64 v9, v9, v10, s2
	s_mov_b32 s2, -1
	s_delay_alu instid0(VALU_DEP_1) | instskip(NEXT) | instid1(VALU_DEP_1)
	v_xor_b32_e32 v9, v9, v5
	v_sub_nc_u32_e32 v16, v9, v5
	s_delay_alu instid0(VALU_DEP_1) | instskip(NEXT) | instid1(VALU_DEP_1)
	v_add_nc_u32_e32 v10, v4, v16
                                        ; implicit-def: $vgpr4
	v_ashrrev_i32_e32 v11, 31, v10
	s_wait_xcnt 0x0
	s_and_saveexec_b32 s3, vcc_lo
	s_cbranch_execz .LBB0_22
; %bb.15:
	s_delay_alu instid0(VALU_DEP_1)
	v_lshl_add_u64 v[4:5], v[10:11], 2, s[26:27]
	global_load_b32 v4, v[4:5], off
	s_wait_loadcnt 0x0
	v_cmp_eq_u32_e64 s2, 0, v4
	v_cmp_ne_u32_e32 vcc_lo, 0, v4
                                        ; implicit-def: $vgpr4
	s_and_saveexec_b32 s6, s2
	s_cbranch_execz .LBB0_21
; %bb.16:
	v_lshl_add_u64 v[4:5], v[10:11], 2, s[12:13]
	s_mov_b32 s19, exec_lo
	global_load_b32 v4, v[4:5], off
	s_wait_loadcnt 0x0
	v_subrev_f32_e32 v4, s16, v4
	s_delay_alu instid0(VALU_DEP_1)
	v_cmp_nlt_f32_e64 s7, 0, v4
	v_cmpx_lt_f32_e32 0, v4
	s_cbranch_execz .LBB0_20
; %bb.17:
	v_lshl_add_u64 v[14:15], v[10:11], 2, s[8:9]
	s_mov_b32 s33, exec_lo
	global_load_b32 v5, v[14:15], off
	s_wait_loadcnt 0x0
	v_cmp_nlt_f32_e64 s23, s20, v5
	v_cmpx_lt_f32_e32 s20, v5
	s_cbranch_execz .LBB0_19
; %bb.18:
	v_lshl_add_u64 v[14:15], v[10:11], 2, s[10:11]
	s_and_not1_b32 s23, s23, exec_lo
	global_load_b32 v5, v[14:15], off
	s_wait_loadcnt 0x0
	v_cmp_nlt_f32_e64 s2, s20, v5
	s_and_b32 s2, s2, exec_lo
	s_delay_alu instid0(SALU_CYCLE_1)
	s_or_b32 s23, s23, s2
.LBB0_19:
	s_or_b32 exec_lo, exec_lo, s33
	s_delay_alu instid0(SALU_CYCLE_1) | instskip(SKIP_1) | instid1(SALU_CYCLE_1)
	s_and_not1_b32 s2, s7, exec_lo
	s_and_b32 s7, s23, exec_lo
	s_or_b32 s7, s2, s7
.LBB0_20:
	s_or_b32 exec_lo, exec_lo, s19
	s_delay_alu instid0(SALU_CYCLE_1) | instskip(SKIP_1) | instid1(SALU_CYCLE_1)
	s_and_not1_b32 s2, vcc_lo, exec_lo
	s_and_b32 s7, s7, exec_lo
	s_or_b32 vcc_lo, s2, s7
.LBB0_21:
	s_or_b32 exec_lo, exec_lo, s6
	s_delay_alu instid0(SALU_CYCLE_1)
	s_or_not1_b32 s2, vcc_lo, exec_lo
.LBB0_22:
	s_or_b32 exec_lo, exec_lo, s3
	v_mul_u64_e32 v[14:15], s[14:15], v[12:13]
	v_ashrrev_i32_e32 v5, 31, v17
	s_and_saveexec_b32 s3, s2
	s_cbranch_execz .LBB0_24
; %bb.23:
	v_lshl_add_u64 v[10:11], v[10:11], 2, s[12:13]
	global_load_b32 v4, v[10:11], off
.LBB0_24:
	s_wait_xcnt 0x0
	s_or_b32 exec_lo, exec_lo, s3
	s_delay_alu instid0(VALU_DEP_2) | instskip(SKIP_1) | instid1(VALU_DEP_2)
	v_mul_lo_u32 v9, v15, s18
	v_cmp_ne_u32_e64 s2, s17, v7
	v_sub_nc_u32_e32 v9, v12, v9
                                        ; implicit-def: $vgpr12_vgpr13
	s_delay_alu instid0(VALU_DEP_1) | instskip(SKIP_1) | instid1(VALU_DEP_2)
	v_subrev_nc_u32_e32 v10, s18, v9
	v_cmp_le_u32_e32 vcc_lo, s18, v9
	v_cndmask_b32_e32 v9, v9, v10, vcc_lo
	s_delay_alu instid0(VALU_DEP_1) | instskip(SKIP_1) | instid1(VALU_DEP_2)
	v_subrev_nc_u32_e32 v10, s18, v9
	v_cmp_le_u32_e32 vcc_lo, s18, v9
	v_cndmask_b32_e32 v9, v9, v10, vcc_lo
	v_cmp_eq_u32_e32 vcc_lo, s17, v7
	s_delay_alu instid0(VALU_DEP_2) | instskip(NEXT) | instid1(VALU_DEP_1)
	v_xor_b32_e32 v9, v9, v5
	v_sub_nc_u32_e32 v11, v9, v5
	s_delay_alu instid0(VALU_DEP_1) | instskip(NEXT) | instid1(VALU_DEP_1)
	v_mul_lo_u32 v14, v11, s22
	v_add_nc_u32_e32 v1, v14, v1
	s_wait_kmcnt 0x0
	global_load_b32 v5, v1, s[4:5] scale_offset
	s_wait_xcnt 0x0
	s_mov_b32 s4, 0
	s_mov_b32 s5, 0
	s_and_saveexec_b32 s3, s2
	s_delay_alu instid0(SALU_CYCLE_1)
	s_xor_b32 s2, exec_lo, s3
	s_cbranch_execz .LBB0_28
; %bb.25:
	v_dual_ashrrev_i32 v9, 31, v8 :: v_dual_ashrrev_i32 v7, 31, v6
	s_mov_b32 s5, exec_lo
	s_delay_alu instid0(VALU_DEP_1)
	v_add_nc_u64_e32 v[12:13], v[8:9], v[6:7]
	s_and_not1_saveexec_b32 s6, s2
	s_cbranch_execnz .LBB0_29
.LBB0_26:
	s_or_b32 exec_lo, exec_lo, s6
	s_load_b64 s[2:3], s[0:1], 0x28
                                        ; implicit-def: $vgpr10
	s_and_saveexec_b32 s6, s5
	s_cbranch_execz .LBB0_36
.LBB0_27:
	s_wait_kmcnt 0x0
	v_lshl_add_u64 v[22:23], v[12:13], 2, s[2:3]
	s_and_not1_b32 s4, s4, exec_lo
	global_load_b32 v10, v[22:23], off offset:-4
	s_wait_xcnt 0x0
	s_or_b32 exec_lo, exec_lo, s6
	s_and_saveexec_b32 s5, s4
	s_cbranch_execnz .LBB0_37
	s_branch .LBB0_38
.LBB0_28:
	s_and_not1_saveexec_b32 s6, s2
	s_cbranch_execz .LBB0_26
.LBB0_29:
	v_dual_ashrrev_i32 v9, 31, v8 :: v_dual_ashrrev_i32 v7, 31, v6
	s_mov_b32 s7, exec_lo
	s_delay_alu instid0(VALU_DEP_1) | instskip(NEXT) | instid1(VALU_DEP_1)
	v_add_nc_u64_e32 v[12:13], v[8:9], v[6:7]
	v_lshl_add_u64 v[22:23], v[12:13], 2, s[26:27]
	global_load_b32 v1, v[22:23], off offset:-4
	s_wait_loadcnt 0x0
	v_cmp_ne_u32_e64 s2, 0, v1
	v_cmpx_eq_u32_e32 0, v1
	s_cbranch_execz .LBB0_35
; %bb.30:
	v_lshl_add_u64 v[22:23], v[12:13], 2, s[12:13]
	s_mov_b32 s14, exec_lo
	global_load_b32 v1, v[22:23], off offset:-4
	s_wait_loadcnt 0x0
	v_cmp_nlt_f32_e64 s3, s16, v1
	v_cmpx_lt_f32_e32 s16, v1
	s_cbranch_execz .LBB0_34
; %bb.31:
	v_lshl_add_u64 v[22:23], v[12:13], 2, s[8:9]
	s_mov_b32 s18, 0
	s_mov_b32 s19, exec_lo
	global_load_b32 v1, v[22:23], off offset:-4
	s_wait_loadcnt 0x0
	v_cmp_nlt_f32_e64 s15, s20, v1
	v_cmpx_lt_f32_e32 s20, v1
	s_cbranch_execz .LBB0_33
; %bb.32:
	v_lshl_add_u64 v[22:23], v[12:13], 2, s[10:11]
	s_and_not1_b32 s15, s15, exec_lo
	s_mov_b32 s18, exec_lo
	global_load_b32 v1, v[22:23], off offset:-4
	s_wait_loadcnt 0x0
	v_cmp_nlt_f32_e64 s4, s20, v1
	s_and_b32 s4, s4, exec_lo
	s_delay_alu instid0(SALU_CYCLE_1)
	s_or_b32 s15, s15, s4
.LBB0_33:
	s_or_b32 exec_lo, exec_lo, s19
	s_delay_alu instid0(SALU_CYCLE_1)
	s_and_not1_b32 s3, s3, exec_lo
	s_and_b32 s4, s15, exec_lo
	s_and_b32 s15, s18, exec_lo
	s_or_b32 s3, s3, s4
.LBB0_34:
	s_or_b32 exec_lo, exec_lo, s14
	s_delay_alu instid0(SALU_CYCLE_1)
	s_and_not1_b32 s2, s2, exec_lo
	s_and_b32 s3, s3, exec_lo
	s_and_b32 s4, s15, exec_lo
	s_or_b32 s2, s2, s3
.LBB0_35:
	s_or_b32 exec_lo, exec_lo, s7
	s_delay_alu instid0(SALU_CYCLE_1)
	s_and_not1_b32 s3, s5, exec_lo
	s_and_b32 s2, s2, exec_lo
	s_and_b32 s4, s4, exec_lo
	s_or_b32 s5, s3, s2
	s_or_b32 exec_lo, exec_lo, s6
	s_load_b64 s[2:3], s[0:1], 0x28
                                        ; implicit-def: $vgpr10
	s_and_saveexec_b32 s6, s5
	s_cbranch_execnz .LBB0_27
.LBB0_36:
	s_or_b32 exec_lo, exec_lo, s6
	s_and_saveexec_b32 s5, s4
	s_cbranch_execz .LBB0_38
.LBB0_37:
	s_wait_kmcnt 0x0
	v_lshl_add_u64 v[12:13], v[12:13], 2, s[2:3]
	global_load_b32 v1, v[12:13], off offset:-4
	s_wait_loadcnt 0x0
	v_add_f32_e32 v10, s20, v1
.LBB0_38:
	s_or_b32 exec_lo, exec_lo, s5
	v_add_nc_u32_e32 v12, v8, v16
	s_wait_kmcnt 0x0
	s_mov_b32 s2, -1
                                        ; implicit-def: $vgpr9
	s_delay_alu instid0(VALU_DEP_1)
	v_ashrrev_i32_e32 v13, 31, v12
	s_and_saveexec_b32 s3, vcc_lo
	s_cbranch_execz .LBB0_46
; %bb.39:
	s_delay_alu instid0(VALU_DEP_1)
	v_lshl_add_u64 v[8:9], v[12:13], 2, s[26:27]
	s_mov_b32 s4, exec_lo
	global_load_b32 v1, v[8:9], off
                                        ; implicit-def: $vgpr9
	s_wait_loadcnt 0x0
	v_cmp_ne_u32_e32 vcc_lo, 0, v1
	v_cmpx_eq_u32_e32 0, v1
	s_cbranch_execz .LBB0_45
; %bb.40:
	v_lshl_add_u64 v[8:9], v[12:13], 2, s[12:13]
	s_mov_b32 s6, exec_lo
	global_load_b32 v1, v[8:9], off
                                        ; implicit-def: $vgpr9
	s_wait_loadcnt 0x0
	v_cmp_nlt_f32_e64 s5, s16, v1
	v_cmpx_lt_f32_e32 s16, v1
	s_cbranch_execz .LBB0_44
; %bb.41:
	v_lshl_add_u64 v[8:9], v[12:13], 2, s[8:9]
	s_mov_b32 s14, exec_lo
	global_load_b32 v1, v[8:9], off
	s_wait_loadcnt 0x0
	v_subrev_f32_e32 v9, s20, v1
	s_delay_alu instid0(VALU_DEP_1)
	v_cmp_nlt_f32_e64 s7, 0, v9
	v_cmpx_lt_f32_e32 0, v9
	s_cbranch_execz .LBB0_43
; %bb.42:
	v_lshl_add_u64 v[22:23], v[12:13], 2, s[10:11]
	s_and_not1_b32 s7, s7, exec_lo
	global_load_b32 v1, v[22:23], off
	s_wait_loadcnt 0x0
	v_cmp_nlt_f32_e64 s2, s20, v1
	s_and_b32 s2, s2, exec_lo
	s_delay_alu instid0(SALU_CYCLE_1)
	s_or_b32 s7, s7, s2
.LBB0_43:
	s_or_b32 exec_lo, exec_lo, s14
	s_delay_alu instid0(SALU_CYCLE_1) | instskip(SKIP_1) | instid1(SALU_CYCLE_1)
	s_and_not1_b32 s2, s5, exec_lo
	s_and_b32 s5, s7, exec_lo
	s_or_b32 s5, s2, s5
.LBB0_44:
	s_or_b32 exec_lo, exec_lo, s6
	s_delay_alu instid0(SALU_CYCLE_1) | instskip(SKIP_1) | instid1(SALU_CYCLE_1)
	s_and_not1_b32 s2, vcc_lo, exec_lo
	s_and_b32 s5, s5, exec_lo
	s_or_b32 vcc_lo, s2, s5
.LBB0_45:
	s_or_b32 exec_lo, exec_lo, s4
	s_delay_alu instid0(SALU_CYCLE_1)
	s_or_not1_b32 s2, vcc_lo, exec_lo
.LBB0_46:
	s_or_b32 exec_lo, exec_lo, s3
	s_and_saveexec_b32 s3, s2
	s_cbranch_execz .LBB0_48
; %bb.47:
	v_lshl_add_u64 v[8:9], v[12:13], 2, s[8:9]
	global_load_b32 v9, v[8:9], off
.LBB0_48:
	s_wait_xcnt 0x0
	s_or_b32 exec_lo, exec_lo, s3
	v_add_nc_u32_e32 v16, v16, v14
	s_mov_b32 s3, -1
	s_mov_b32 s4, exec_lo
	v_cmp_ne_u32_e32 vcc_lo, s17, v11
                                        ; implicit-def: $vgpr12
	s_delay_alu instid0(VALU_DEP_2)
	v_ashrrev_i32_e32 v17, 31, v16
	v_cmpx_eq_u32_e64 s17, v11
	s_cbranch_execz .LBB0_56
; %bb.49:
	s_delay_alu instid0(VALU_DEP_2)
	v_lshl_add_u64 v[12:13], v[16:17], 2, s[26:27]
	s_mov_b32 s5, exec_lo
	global_load_b32 v1, v[12:13], off
                                        ; implicit-def: $vgpr12
	s_wait_loadcnt 0x0
	v_cmp_ne_u32_e64 s2, 0, v1
	v_cmpx_eq_u32_e32 0, v1
	s_cbranch_execz .LBB0_55
; %bb.50:
	v_lshl_add_u64 v[12:13], v[16:17], 2, s[12:13]
	s_mov_b32 s7, exec_lo
	global_load_b32 v1, v[12:13], off
                                        ; implicit-def: $vgpr12
	s_wait_loadcnt 0x0
	v_cmp_nlt_f32_e64 s6, s16, v1
	v_cmpx_lt_f32_e32 s16, v1
	s_cbranch_execz .LBB0_54
; %bb.51:
	v_lshl_add_u64 v[12:13], v[16:17], 2, s[8:9]
	s_mov_b32 s15, exec_lo
	global_load_b32 v1, v[12:13], off
                                        ; implicit-def: $vgpr12
	s_wait_loadcnt 0x0
	v_cmp_nlt_f32_e64 s14, s20, v1
	v_cmpx_lt_f32_e32 s20, v1
	s_cbranch_execz .LBB0_53
; %bb.52:
	v_lshl_add_u64 v[12:13], v[16:17], 2, s[10:11]
	s_and_not1_b32 s14, s14, exec_lo
	global_load_b32 v1, v[12:13], off
	s_wait_loadcnt 0x0
	v_subrev_f32_e32 v12, s20, v1
	s_delay_alu instid0(VALU_DEP_1) | instskip(SKIP_1) | instid1(SALU_CYCLE_1)
	v_cmp_nlt_f32_e64 s3, 0, v12
	s_and_b32 s3, s3, exec_lo
	s_or_b32 s14, s14, s3
.LBB0_53:
	s_or_b32 exec_lo, exec_lo, s15
	s_delay_alu instid0(SALU_CYCLE_1) | instskip(SKIP_1) | instid1(SALU_CYCLE_1)
	s_and_not1_b32 s3, s6, exec_lo
	s_and_b32 s6, s14, exec_lo
	s_or_b32 s6, s3, s6
.LBB0_54:
	s_or_b32 exec_lo, exec_lo, s7
	s_delay_alu instid0(SALU_CYCLE_1) | instskip(SKIP_1) | instid1(SALU_CYCLE_1)
	s_and_not1_b32 s2, s2, exec_lo
	s_and_b32 s3, s6, exec_lo
	s_or_b32 s2, s2, s3
.LBB0_55:
	s_or_b32 exec_lo, exec_lo, s5
	s_delay_alu instid0(SALU_CYCLE_1)
	s_or_not1_b32 s3, s2, exec_lo
.LBB0_56:
	s_or_b32 exec_lo, exec_lo, s4
	s_and_saveexec_b32 s2, s3
	s_cbranch_execz .LBB0_58
; %bb.57:
	v_lshl_add_u64 v[12:13], v[16:17], 2, s[10:11]
	global_load_b32 v12, v[12:13], off
.LBB0_58:
	s_wait_xcnt 0x0
	s_or_b32 exec_lo, exec_lo, s2
	s_mov_b32 s34, 0
	s_mov_b32 s4, 0
                                        ; implicit-def: $vgpr16_vgpr17
	s_and_saveexec_b32 s2, vcc_lo
	s_delay_alu instid0(SALU_CYCLE_1)
	s_xor_b32 s2, exec_lo, s2
; %bb.59:
	v_ashrrev_i32_e32 v15, 31, v14
	v_ashrrev_i32_e32 v7, 31, v6
	s_mov_b32 s4, exec_lo
	s_delay_alu instid0(VALU_DEP_1)
	v_add_nc_u64_e32 v[16:17], v[6:7], v[14:15]
                                        ; implicit-def: $vgpr14
                                        ; implicit-def: $vgpr6
; %bb.60:
	s_and_not1_saveexec_b32 s5, s2
	s_cbranch_execz .LBB0_68
; %bb.61:
	v_ashrrev_i32_e32 v15, 31, v14
	v_ashrrev_i32_e32 v7, 31, v6
	s_mov_b32 s3, 0
	s_mov_b32 s6, exec_lo
	s_delay_alu instid0(VALU_DEP_1) | instskip(NEXT) | instid1(VALU_DEP_1)
	v_add_nc_u64_e32 v[16:17], v[6:7], v[14:15]
	v_lshl_add_u64 v[6:7], v[16:17], 2, s[26:27]
	global_load_b32 v1, v[6:7], off offset:-4
	s_wait_loadcnt 0x0
	v_cmp_ne_u32_e32 vcc_lo, 0, v1
	v_cmpx_eq_u32_e32 0, v1
	s_cbranch_execz .LBB0_67
; %bb.62:
	v_lshl_add_u64 v[6:7], v[16:17], 2, s[12:13]
	s_mov_b32 s12, 0
	s_mov_b32 s7, exec_lo
	global_load_b32 v1, v[6:7], off offset:-4
	s_wait_loadcnt 0x0
	v_cmp_nlt_f32_e64 s2, s16, v1
	v_cmpx_lt_f32_e32 s16, v1
	s_cbranch_execz .LBB0_66
; %bb.63:
	v_lshl_add_u64 v[6:7], v[16:17], 2, s[8:9]
	s_mov_b32 s9, 0
	s_mov_b32 s12, exec_lo
	global_load_b32 v1, v[6:7], off offset:-4
	s_wait_loadcnt 0x0
	v_cmp_nlt_f32_e64 s8, s20, v1
	v_cmpx_lt_f32_e32 s20, v1
	s_cbranch_execz .LBB0_65
; %bb.64:
	v_lshl_add_u64 v[6:7], v[16:17], 2, s[10:11]
	s_and_not1_b32 s8, s8, exec_lo
	s_mov_b32 s9, exec_lo
	global_load_b32 v1, v[6:7], off offset:-4
	s_wait_loadcnt 0x0
	v_cmp_nlt_f32_e64 s3, s20, v1
	s_and_b32 s3, s3, exec_lo
	s_delay_alu instid0(SALU_CYCLE_1)
	s_or_b32 s8, s8, s3
.LBB0_65:
	s_or_b32 exec_lo, exec_lo, s12
	s_delay_alu instid0(SALU_CYCLE_1)
	s_and_not1_b32 s2, s2, exec_lo
	s_and_b32 s3, s8, exec_lo
	s_and_b32 s12, s9, exec_lo
	s_or_b32 s2, s2, s3
.LBB0_66:
	s_or_b32 exec_lo, exec_lo, s7
	s_delay_alu instid0(SALU_CYCLE_1)
	s_and_not1_b32 s7, vcc_lo, exec_lo
	s_and_b32 s2, s2, exec_lo
	s_and_b32 s3, s12, exec_lo
	s_or_b32 vcc_lo, s7, s2
.LBB0_67:
	s_or_b32 exec_lo, exec_lo, s6
	s_delay_alu instid0(SALU_CYCLE_1)
	s_and_not1_b32 s2, s4, exec_lo
	s_and_b32 s4, vcc_lo, exec_lo
	s_and_b32 s34, s3, exec_lo
	s_or_b32 s4, s2, s4
.LBB0_68:
	s_or_b32 exec_lo, exec_lo, s5
	s_clause 0x1
	s_load_b32 s33, s[0:1], 0xb8
	s_load_b64 s[22:23], s[0:1], 0x40
	v_ashrrev_i32_e32 v1, 31, v0
	s_and_saveexec_b32 s2, s4
	s_cbranch_execz .LBB0_70
; %bb.69:
	s_wait_kmcnt 0x0
	v_lshl_add_u64 v[6:7], v[16:17], 2, s[22:23]
	s_and_not1_b32 s34, s34, exec_lo
	global_load_b32 v8, v[6:7], off offset:-4
.LBB0_70:
	s_wait_xcnt 0x0
	s_or_b32 exec_lo, exec_lo, s2
	s_clause 0x2
	s_load_b64 s[2:3], s[0:1], 0x88
	s_load_b256 s[4:11], s[0:1], 0x68
	s_load_b256 s[12:19], s[0:1], 0x48
	s_and_saveexec_b32 s35, s34
	s_cbranch_execz .LBB0_72
; %bb.71:
	s_wait_kmcnt 0x0
	v_lshl_add_u64 v[6:7], v[16:17], 2, s[22:23]
	global_load_b32 v6, v[6:7], off offset:-4
	s_wait_loadcnt 0x0
	v_add_f32_e32 v8, s20, v6
.LBB0_72:
	s_or_b32 exec_lo, exec_lo, s35
	v_lshlrev_b64_e32 v[6:7], 2, v[0:1]
	s_wait_loadcnt 0x0
	v_mov_b32_e32 v14, v9
	s_delay_alu instid0(VALU_DEP_2)
	v_add_nc_u64_e32 v[0:1], s[26:27], v[6:7]
	s_wait_kmcnt 0x0
	v_add_nc_u64_e32 v[24:25], s[12:13], v[6:7]
	v_add_nc_u64_e32 v[26:27], s[14:15], v[6:7]
	;; [unrolled: 1-line block ×6, first 2 shown]
	global_load_b32 v11, v[0:1], off
	s_wait_xcnt 0x0
	v_add_f32_e32 v0, v20, v2
	v_add_nc_u64_e32 v[36:37], s[8:9], v[6:7]
	v_add_nc_u64_e32 v[38:39], s[10:11], v[6:7]
	;; [unrolled: 1-line block ×3, first 2 shown]
	s_delay_alu instid0(VALU_DEP_4) | instskip(NEXT) | instid1(VALU_DEP_1)
	v_add_f32_e32 v0, v0, v3
	v_add_f32_e32 v0, v0, v4
	s_delay_alu instid0(VALU_DEP_1) | instskip(NEXT) | instid1(VALU_DEP_1)
	v_add_f32_e32 v0, v0, v5
	v_add_f32_e32 v0, v0, v10
	s_delay_alu instid0(VALU_DEP_1) | instskip(NEXT) | instid1(VALU_DEP_1)
	;; [unrolled: 3-line block ×3, first 2 shown]
	v_add_f32_e32 v13, v0, v8
	v_div_scale_f32 v16, null, v13, v13, 1.0
	s_delay_alu instid0(VALU_DEP_1) | instskip(SKIP_1) | instid1(TRANS32_DEP_1)
	v_rcp_f32_e32 v17, v16
	v_nop
	v_fma_f32 v0, -v16, v17, 1.0
	s_delay_alu instid0(VALU_DEP_1) | instskip(SKIP_2) | instid1(VALU_DEP_2)
	v_fmac_f32_e32 v17, v0, v17
	v_div_scale_f32 v21, vcc_lo, 1.0, v13, 1.0
	v_mul_f32_e32 v43, 0x3de38e39, v13
	v_mul_f32_e32 v22, v21, v17
	s_delay_alu instid0(VALU_DEP_1) | instskip(NEXT) | instid1(VALU_DEP_1)
	v_fma_f32 v15, -v16, v22, v21
	v_dual_fmac_f32 v22, v15, v17 :: v_dual_mov_b32 v15, v8
	s_delay_alu instid0(VALU_DEP_1) | instskip(SKIP_3) | instid1(VALU_DEP_2)
	v_fma_f32 v16, -v16, v22, v21
	s_wait_loadcnt 0x0
	v_pk_add_f32 v[0:1], v[2:3], v[10:11] op_sel_hi:[1,0]
	v_cmp_eq_u32_e64 s2, 0, v11
	v_pk_add_f32 v[0:1], v[0:1], v[8:9]
	s_delay_alu instid0(VALU_DEP_1) | instskip(NEXT) | instid1(VALU_DEP_1)
	v_pk_add_f32 v[0:1], v[0:1], v[4:5] neg_lo:[0,1] neg_hi:[0,1]
	v_pk_add_f32 v[0:1], v[0:1], v[14:15] neg_lo:[0,1] neg_hi:[0,1]
	v_div_fmas_f32 v14, v16, v17, v22
	v_mov_b64_e32 v[22:23], 0x4090000040400000
	s_delay_alu instid0(VALU_DEP_3) | instskip(NEXT) | instid1(VALU_DEP_3)
	v_pk_add_f32 v[0:1], v[0:1], v[12:13] op_sel_hi:[1,0] neg_lo:[0,1] neg_hi:[0,1]
	v_div_fixup_f32 v14, v14, v13, 1.0
	s_delay_alu instid0(VALU_DEP_1) | instskip(SKIP_2) | instid1(VALU_DEP_3)
	v_pk_mul_f32 v[14:15], v[0:1], v[14:15] op_sel_hi:[1,0]
	v_mul_f32_e32 v44, 0x3ce38e39, v13
	v_dual_mul_f32 v13, 0x3ee38e39, v13 :: v_dual_mov_b32 v0, 0
	v_pk_mul_f32 v[16:17], v[14:15], v[14:15]
	v_dual_mov_b32 v6, v14 :: v_dual_add_f32 v45, v15, v14
	v_dual_sub_f32 v46, v15, v14 :: v_dual_sub_f32 v48, -v14, v15
	s_delay_alu instid0(VALU_DEP_3) | instskip(NEXT) | instid1(VALU_DEP_3)
	v_dual_add_f32 v1, v17, v16 :: v_dual_sub_f32 v14, v14, v15
	v_fma_f32 v50, 0x40400000, v45, 1.0
	s_delay_alu instid0(VALU_DEP_3) | instskip(NEXT) | instid1(VALU_DEP_4)
	v_fma_f32 v51, 0x40400000, v46, 1.0
	v_fma_f32 v52, 0x40400000, v48, 1.0
	s_delay_alu instid0(VALU_DEP_4) | instskip(SKIP_2) | instid1(VALU_DEP_3)
	v_div_scale_f32 v21, null, 0xbf2aaaab, 0xbf2aaaab, v1
	v_div_scale_f32 v47, vcc_lo, v1, 0xbf2aaaab, v1
	v_dual_mul_f32 v48, v48, v48 :: v_dual_mul_f32 v54, v14, v14
	v_rcp_f32_e32 v42, v21
	v_mul_f32_e32 v45, v45, v45
	v_fma_f32 v53, 0x40400000, v14, 1.0
	s_delay_alu instid0(VALU_DEP_3) | instskip(NEXT) | instid1(VALU_DEP_3)
	v_fmac_f32_e32 v52, 0x40900000, v48
	v_fmac_f32_e32 v50, 0x40900000, v45
	s_delay_alu instid0(TRANS32_DEP_1) | instskip(NEXT) | instid1(VALU_DEP_4)
	v_fma_f32 v7, -v21, v42, 1.0
	v_fmac_f32_e32 v53, 0x40900000, v54
	s_delay_alu instid0(VALU_DEP_2) | instskip(SKIP_1) | instid1(VALU_DEP_2)
	v_dual_fmac_f32 v42, v7, v42 :: v_dual_mov_b32 v7, v16
	v_mov_b32_e32 v16, v15
	v_mul_f32_e32 v49, v47, v42
	v_mul_f32_e32 v46, v46, v46
	s_delay_alu instid0(VALU_DEP_4) | instskip(NEXT) | instid1(VALU_DEP_3)
	v_pk_mul_f32 v[6:7], v[6:7], v[22:23]
	v_fma_f32 v15, -v21, v49, v47
	s_delay_alu instid0(VALU_DEP_3) | instskip(NEXT) | instid1(VALU_DEP_2)
	v_fmac_f32_e32 v51, 0x40900000, v46
	v_fmac_f32_e32 v49, v15, v42
	v_pk_mul_f32 v[14:15], v[16:17], v[22:23]
	v_dual_add_f32 v17, 1.0, v6 :: v_dual_sub_f32 v6, 1.0, v6
	s_delay_alu instid0(VALU_DEP_2) | instskip(NEXT) | instid1(VALU_DEP_2)
	v_dual_fma_f32 v16, -v21, v49, v47 :: v_dual_add_f32 v21, 1.0, v14
	v_dual_sub_f32 v14, 1.0, v14 :: v_dual_add_f32 v17, v17, v7
	s_delay_alu instid0(VALU_DEP_3) | instskip(NEXT) | instid1(VALU_DEP_3)
	v_add_f32_e32 v6, v6, v7
	v_div_fmas_f32 v16, v16, v42, v49
	s_delay_alu instid0(VALU_DEP_3) | instskip(NEXT) | instid1(VALU_DEP_2)
	v_add_f32_e32 v7, v14, v15
	v_div_fixup_f32 v1, v16, 0xbf2aaaab, v1
	v_add_f32_e32 v16, v21, v15
	s_delay_alu instid0(VALU_DEP_1) | instskip(SKIP_3) | instid1(VALU_DEP_4)
	v_dual_add_f32 v14, v17, v1 :: v_dual_add_f32 v15, v16, v1
	v_dual_add_f32 v16, 1.0, v1 :: v_dual_add_f32 v17, v1, v50
	v_dual_add_f32 v6, v6, v1 :: v_dual_add_f32 v7, v7, v1
	v_dual_add_f32 v21, v1, v51 :: v_dual_add_f32 v22, v1, v52
	v_dual_add_f32 v1, v1, v53 :: v_dual_fma_f32 v14, v43, v14, -v2
	s_delay_alu instid0(VALU_DEP_4) | instskip(NEXT) | instid1(VALU_DEP_4)
	v_dual_fma_f32 v13, v13, v16, -v20 :: v_dual_fma_f32 v15, v43, v15, -v3
	v_dual_fma_f32 v16, v43, v6, -v4 :: v_dual_fma_f32 v23, v43, v7, -v5
	s_delay_alu instid0(VALU_DEP_4) | instskip(NEXT) | instid1(VALU_DEP_4)
	v_dual_fma_f32 v7, v44, v17, -v10 :: v_dual_fma_f32 v17, v44, v22, -v12
	v_dual_fma_f32 v21, v44, v21, -v9 :: v_dual_fma_f32 v6, s21, v14, v2
	s_delay_alu instid0(VALU_DEP_2) | instskip(SKIP_1) | instid1(VALU_DEP_3)
	v_dual_fma_f32 v13, s21, v13, v20 :: v_dual_fma_f32 v7, s21, v7, v10
	v_dual_fma_f32 v22, v44, v1, -v8 :: v_dual_fma_f32 v11, s21, v15, v3
	v_dual_fma_f32 v1, s21, v21, v9 :: v_dual_cndmask_b32 v15, v4, v6, s2
	s_delay_alu instid0(VALU_DEP_3) | instskip(NEXT) | instid1(VALU_DEP_3)
	v_dual_cndmask_b32 v14, v20, v13, s2 :: v_dual_fmac_f32 v4, s21, v16
	v_cndmask_b32_e64 v16, v5, v11, s2
	v_fmac_f32_e32 v5, s21, v23
	v_dual_cndmask_b32 v20, v12, v7, s2 :: v_dual_fmac_f32 v12, s21, v17
	v_dual_cndmask_b32 v17, v8, v1, s2 :: v_dual_fmac_f32 v8, s21, v22
	s_delay_alu instid0(VALU_DEP_3)
	v_dual_cndmask_b32 v2, v2, v4, s2 :: v_dual_cndmask_b32 v3, v3, v5, s2
	global_store_b32 v[24:25], v14, off
	v_cndmask_b32_e64 v10, v10, v12, s2
	v_cndmask_b32_e64 v9, v9, v8, s2
	global_store_b32 v[26:27], v15, off
	global_store_b32 v[28:29], v16, off
	;; [unrolled: 1-line block ×8, first 2 shown]
	s_wait_xcnt 0x0
	s_and_saveexec_b32 s3, s2
	s_cbranch_execz .LBB0_74
; %bb.73:
	v_dual_add_f32 v0, v13, v6 :: v_dual_add_f32 v6, v6, v7
	s_delay_alu instid0(VALU_DEP_1) | instskip(NEXT) | instid1(VALU_DEP_2)
	v_dual_add_f32 v0, v11, v0 :: v_dual_add_f32 v11, v11, v7
	v_add_f32_e32 v6, v8, v6
	s_delay_alu instid0(VALU_DEP_2) | instskip(NEXT) | instid1(VALU_DEP_2)
	v_add_f32_e32 v0, v4, v0
	v_sub_f32_e32 v4, v6, v4
	s_delay_alu instid0(VALU_DEP_2) | instskip(NEXT) | instid1(VALU_DEP_1)
	v_add_f32_e32 v0, v5, v0
	v_dual_add_f32 v0, v7, v0 :: v_dual_add_f32 v7, v1, v11
	s_delay_alu instid0(VALU_DEP_1) | instskip(NEXT) | instid1(VALU_DEP_1)
	v_dual_add_f32 v0, v1, v0 :: v_dual_sub_f32 v5, v7, v5
	v_add_f32_e32 v0, v12, v0
	s_delay_alu instid0(VALU_DEP_2) | instskip(NEXT) | instid1(VALU_DEP_2)
	v_dual_sub_f32 v5, v5, v12 :: v_dual_sub_f32 v1, v4, v1
	v_add_f32_e32 v0, v8, v0
	s_delay_alu instid0(VALU_DEP_1) | instskip(SKIP_1) | instid1(VALU_DEP_2)
	v_div_scale_f32 v2, null, v0, v0, 1.0
	v_div_scale_f32 v10, vcc_lo, 1.0, v0, 1.0
	v_rcp_f32_e32 v3, v2
	v_nop
	s_delay_alu instid0(TRANS32_DEP_1) | instskip(NEXT) | instid1(VALU_DEP_1)
	v_fma_f32 v9, -v2, v3, 1.0
	v_fmac_f32_e32 v3, v9, v3
	s_delay_alu instid0(VALU_DEP_1) | instskip(NEXT) | instid1(VALU_DEP_1)
	v_mul_f32_e32 v9, v10, v3
	v_fma_f32 v13, -v2, v9, v10
	s_delay_alu instid0(VALU_DEP_1) | instskip(NEXT) | instid1(VALU_DEP_1)
	v_fmac_f32_e32 v9, v13, v3
	v_fma_f32 v2, -v2, v9, v10
	s_delay_alu instid0(VALU_DEP_1) | instskip(SKIP_2) | instid1(VALU_DEP_3)
	v_div_fmas_f32 v2, v2, v3, v9
	v_sub_f32_e32 v3, v5, v8
	v_sub_f32_e32 v1, v1, v12
	v_div_fixup_f32 v0, v2, v0, 1.0
	s_delay_alu instid0(VALU_DEP_1) | instskip(NEXT) | instid1(VALU_DEP_1)
	v_dual_mul_f32 v2, v3, v0 :: v_dual_mul_f32 v3, v1, v0
	v_max_num_f32_e64 v4, |v3|, |v2|
	s_delay_alu instid0(VALU_DEP_1) | instskip(SKIP_1) | instid1(VALU_DEP_2)
	v_cvt_f64_f32_e32 v[0:1], v4
	v_cmp_neq_f32_e32 vcc_lo, 0x7f800000, v4
	v_frexp_exp_i32_f64_e32 v0, v[0:1]
	s_delay_alu instid0(VALU_DEP_1) | instskip(NEXT) | instid1(VALU_DEP_1)
	v_sub_nc_u32_e32 v1, 0, v0
	v_ldexp_f32 v2, |v2|, v1
	v_ldexp_f32 v1, |v3|, v1
	s_delay_alu instid0(VALU_DEP_2) | instskip(NEXT) | instid1(VALU_DEP_1)
	v_mul_f32_e32 v2, v2, v2
	v_fmac_f32_e32 v2, v1, v1
	s_delay_alu instid0(VALU_DEP_1) | instskip(SKIP_1) | instid1(TRANS32_DEP_1)
	v_sqrt_f32_e32 v1, v2
	v_nop
	v_ldexp_f32 v0, v1, v0
	s_delay_alu instid0(VALU_DEP_1)
	v_cndmask_b32_e32 v0, 0x7f800000, v0, vcc_lo
.LBB0_74:
	s_or_b32 exec_lo, exec_lo, s3
	v_mul_u32_u24_e32 v1, s31, v18
	v_cndmask_b32_e64 v2, 0, 1, s2
	v_or_b32_e32 v3, v19, v18
	s_mov_b32 s2, exec_lo
	s_delay_alu instid0(VALU_DEP_3)
	v_add_lshl_u32 v1, v1, v19, 2
	ds_store_2addr_stride64_b32 v1, v2, v0 offset1:2
	s_wait_storecnt_dscnt 0x0
	s_barrier_signal -1
	s_barrier_wait -1
	v_cmpx_eq_u32_e32 0, v3
	s_cbranch_execz .LBB0_85
; %bb.75:
	s_load_b128 s[0:3], s[0:1], 0x98
	s_mul_i32 s30, s30, s31
	s_mov_b32 s4, 0
	s_cmp_eq_u32 s30, 0
	s_cbranch_scc1 .LBB0_80
; %bb.76:
	s_cmp_lt_u32 s30, 8
	s_cbranch_scc1 .LBB0_81
; %bb.77:
	v_dual_mov_b32 v0, 0 :: v_dual_mov_b32 v1, 0
	s_and_b32 s4, s30, 0x7ffffff8
	s_mov_b32 s5, 0
	s_mov_b32 s6, 0
.LBB0_78:                               ; =>This Inner Loop Header: Depth=1
	v_mov_b32_e32 v14, s5
	s_add_co_i32 s6, s6, 8
	s_add_co_i32 s5, s5, 32
	s_cmp_eq_u32 s4, s6
	ds_load_b128 v[2:5], v14 offset:512
	ds_load_b128 v[6:9], v14
	ds_load_b128 v[10:13], v14 offset:16
	ds_load_b128 v[14:17], v14 offset:528
	s_wait_dscnt 0x2
	v_dual_add_f32 v1, v1, v2 :: v_dual_add_nc_u32 v0, v6, v0
	s_delay_alu instid0(VALU_DEP_1) | instskip(NEXT) | instid1(VALU_DEP_1)
	v_add_f32_e32 v1, v1, v3
	v_add_f32_e32 v1, v1, v4
	s_delay_alu instid0(VALU_DEP_1) | instskip(SKIP_1) | instid1(VALU_DEP_1)
	v_dual_add_f32 v1, v1, v5 :: v_dual_add_nc_u32 v0, v7, v0
	s_wait_dscnt 0x0
	v_dual_add_f32 v1, v1, v14 :: v_dual_add_nc_u32 v0, v8, v0
	s_delay_alu instid0(VALU_DEP_1) | instskip(NEXT) | instid1(VALU_DEP_1)
	v_add_nc_u32_e32 v0, v9, v0
	v_dual_add_f32 v1, v1, v15 :: v_dual_add_nc_u32 v0, v10, v0
	s_delay_alu instid0(VALU_DEP_1) | instskip(NEXT) | instid1(VALU_DEP_1)
	v_add_f32_e32 v1, v1, v16
	v_dual_add_f32 v1, v1, v17 :: v_dual_add_nc_u32 v0, v11, v0
	s_delay_alu instid0(VALU_DEP_1) | instskip(NEXT) | instid1(VALU_DEP_1)
	v_add_nc_u32_e32 v0, v12, v0
	v_add_nc_u32_e32 v0, v13, v0
	s_cbranch_scc0 .LBB0_78
; %bb.79:
	s_and_b32 s5, s30, 7
	s_delay_alu instid0(SALU_CYCLE_1)
	s_cmp_eq_u32 s5, 0
	s_cbranch_scc0 .LBB0_82
	s_branch .LBB0_84
.LBB0_80:
	v_dual_mov_b32 v0, 0 :: v_dual_mov_b32 v1, 0
	s_branch .LBB0_84
.LBB0_81:
	v_dual_mov_b32 v0, 0 :: v_dual_mov_b32 v1, 0
	s_and_b32 s5, s30, 7
	s_delay_alu instid0(SALU_CYCLE_1)
	s_cmp_eq_u32 s5, 0
	s_cbranch_scc1 .LBB0_84
.LBB0_82:
	s_lshl_b32 s4, s4, 2
.LBB0_83:                               ; =>This Inner Loop Header: Depth=1
	s_delay_alu instid0(SALU_CYCLE_1)
	v_mov_b32_e32 v2, s4
	s_add_co_i32 s5, s5, -1
	s_add_co_i32 s4, s4, 4
	s_cmp_lg_u32 s5, 0
	ds_load_2addr_stride64_b32 v[2:3], v2 offset1:2
	s_wait_dscnt 0x0
	v_dual_add_f32 v1, v1, v3 :: v_dual_add_nc_u32 v0, v2, v0
	s_cbranch_scc1 .LBB0_83
.LBB0_84:
	s_mul_i32 s4, s25, s33
	s_delay_alu instid0(SALU_CYCLE_1) | instskip(NEXT) | instid1(SALU_CYCLE_1)
	s_add_co_i32 s4, s4, s28
	s_mul_i32 s4, s4, s24
	s_delay_alu instid0(SALU_CYCLE_1) | instskip(NEXT) | instid1(SALU_CYCLE_1)
	s_add_co_i32 s4, s4, s29
	v_mov_b32_e32 v2, s4
	s_wait_kmcnt 0x0
	s_clause 0x1
	global_store_b32 v2, v1, s[0:1] scale_offset
	global_store_b32 v2, v0, s[2:3] scale_offset
.LBB0_85:
	s_endpgm
	.section	.rodata,"a",@progbits
	.p2align	6, 0x0
	.amdhsa_kernel _Z8d2q9_bgkPKfS0_S0_S0_S0_S0_S0_S0_S0_PfS1_S1_S1_S1_S1_S1_S1_S1_PKiS1_Piffiii
		.amdhsa_group_segment_fixed_size 1024
		.amdhsa_private_segment_fixed_size 0
		.amdhsa_kernarg_size 448
		.amdhsa_user_sgpr_count 2
		.amdhsa_user_sgpr_dispatch_ptr 0
		.amdhsa_user_sgpr_queue_ptr 0
		.amdhsa_user_sgpr_kernarg_segment_ptr 1
		.amdhsa_user_sgpr_dispatch_id 0
		.amdhsa_user_sgpr_kernarg_preload_length 0
		.amdhsa_user_sgpr_kernarg_preload_offset 0
		.amdhsa_user_sgpr_private_segment_size 0
		.amdhsa_wavefront_size32 1
		.amdhsa_uses_dynamic_stack 0
		.amdhsa_enable_private_segment 0
		.amdhsa_system_sgpr_workgroup_id_x 1
		.amdhsa_system_sgpr_workgroup_id_y 1
		.amdhsa_system_sgpr_workgroup_id_z 0
		.amdhsa_system_sgpr_workgroup_info 0
		.amdhsa_system_vgpr_workitem_id 1
		.amdhsa_next_free_vgpr 55
		.amdhsa_next_free_sgpr 39
		.amdhsa_named_barrier_count 0
		.amdhsa_reserve_vcc 1
		.amdhsa_float_round_mode_32 0
		.amdhsa_float_round_mode_16_64 0
		.amdhsa_float_denorm_mode_32 3
		.amdhsa_float_denorm_mode_16_64 3
		.amdhsa_fp16_overflow 0
		.amdhsa_memory_ordered 1
		.amdhsa_forward_progress 1
		.amdhsa_inst_pref_size 37
		.amdhsa_round_robin_scheduling 0
		.amdhsa_exception_fp_ieee_invalid_op 0
		.amdhsa_exception_fp_denorm_src 0
		.amdhsa_exception_fp_ieee_div_zero 0
		.amdhsa_exception_fp_ieee_overflow 0
		.amdhsa_exception_fp_ieee_underflow 0
		.amdhsa_exception_fp_ieee_inexact 0
		.amdhsa_exception_int_div_zero 0
	.end_amdhsa_kernel
	.text
.Lfunc_end0:
	.size	_Z8d2q9_bgkPKfS0_S0_S0_S0_S0_S0_S0_S0_PfS1_S1_S1_S1_S1_S1_S1_S1_PKiS1_Piffiii, .Lfunc_end0-_Z8d2q9_bgkPKfS0_S0_S0_S0_S0_S0_S0_S0_PfS1_S1_S1_S1_S1_S1_S1_S1_PKiS1_Piffiii
                                        ; -- End function
	.set _Z8d2q9_bgkPKfS0_S0_S0_S0_S0_S0_S0_S0_PfS1_S1_S1_S1_S1_S1_S1_S1_PKiS1_Piffiii.num_vgpr, 55
	.set _Z8d2q9_bgkPKfS0_S0_S0_S0_S0_S0_S0_S0_PfS1_S1_S1_S1_S1_S1_S1_S1_PKiS1_Piffiii.num_agpr, 0
	.set _Z8d2q9_bgkPKfS0_S0_S0_S0_S0_S0_S0_S0_PfS1_S1_S1_S1_S1_S1_S1_S1_PKiS1_Piffiii.numbered_sgpr, 39
	.set _Z8d2q9_bgkPKfS0_S0_S0_S0_S0_S0_S0_S0_PfS1_S1_S1_S1_S1_S1_S1_S1_PKiS1_Piffiii.num_named_barrier, 0
	.set _Z8d2q9_bgkPKfS0_S0_S0_S0_S0_S0_S0_S0_PfS1_S1_S1_S1_S1_S1_S1_S1_PKiS1_Piffiii.private_seg_size, 0
	.set _Z8d2q9_bgkPKfS0_S0_S0_S0_S0_S0_S0_S0_PfS1_S1_S1_S1_S1_S1_S1_S1_PKiS1_Piffiii.uses_vcc, 1
	.set _Z8d2q9_bgkPKfS0_S0_S0_S0_S0_S0_S0_S0_PfS1_S1_S1_S1_S1_S1_S1_S1_PKiS1_Piffiii.uses_flat_scratch, 0
	.set _Z8d2q9_bgkPKfS0_S0_S0_S0_S0_S0_S0_S0_PfS1_S1_S1_S1_S1_S1_S1_S1_PKiS1_Piffiii.has_dyn_sized_stack, 0
	.set _Z8d2q9_bgkPKfS0_S0_S0_S0_S0_S0_S0_S0_PfS1_S1_S1_S1_S1_S1_S1_S1_PKiS1_Piffiii.has_recursion, 0
	.set _Z8d2q9_bgkPKfS0_S0_S0_S0_S0_S0_S0_S0_PfS1_S1_S1_S1_S1_S1_S1_S1_PKiS1_Piffiii.has_indirect_call, 0
	.section	.AMDGPU.csdata,"",@progbits
; Kernel info:
; codeLenInByte = 4736
; TotalNumSgprs: 41
; NumVgprs: 55
; ScratchSize: 0
; MemoryBound: 0
; FloatMode: 240
; IeeeMode: 1
; LDSByteSize: 1024 bytes/workgroup (compile time only)
; SGPRBlocks: 0
; VGPRBlocks: 3
; NumSGPRsForWavesPerEU: 41
; NumVGPRsForWavesPerEU: 55
; NamedBarCnt: 0
; Occupancy: 16
; WaveLimiterHint : 0
; COMPUTE_PGM_RSRC2:SCRATCH_EN: 0
; COMPUTE_PGM_RSRC2:USER_SGPR: 2
; COMPUTE_PGM_RSRC2:TRAP_HANDLER: 0
; COMPUTE_PGM_RSRC2:TGID_X_EN: 1
; COMPUTE_PGM_RSRC2:TGID_Y_EN: 1
; COMPUTE_PGM_RSRC2:TGID_Z_EN: 0
; COMPUTE_PGM_RSRC2:TIDIG_COMP_CNT: 1
	.text
	.p2alignl 7, 3214868480
	.fill 96, 4, 3214868480
	.section	.AMDGPU.gpr_maximums,"",@progbits
	.set amdgpu.max_num_vgpr, 0
	.set amdgpu.max_num_agpr, 0
	.set amdgpu.max_num_sgpr, 0
	.text
	.type	__hip_cuid_3ae7a1f15275cfd,@object ; @__hip_cuid_3ae7a1f15275cfd
	.section	.bss,"aw",@nobits
	.globl	__hip_cuid_3ae7a1f15275cfd
__hip_cuid_3ae7a1f15275cfd:
	.byte	0                               ; 0x0
	.size	__hip_cuid_3ae7a1f15275cfd, 1

	.ident	"AMD clang version 22.0.0git (https://github.com/RadeonOpenCompute/llvm-project roc-7.2.4 26084 f58b06dce1f9c15707c5f808fd002e18c2accf7e)"
	.section	".note.GNU-stack","",@progbits
	.addrsig
	.addrsig_sym __hip_cuid_3ae7a1f15275cfd
	.amdgpu_metadata
---
amdhsa.kernels:
  - .args:
      - .actual_access:  read_only
        .address_space:  global
        .offset:         0
        .size:           8
        .value_kind:     global_buffer
      - .actual_access:  read_only
        .address_space:  global
        .offset:         8
        .size:           8
        .value_kind:     global_buffer
      - .actual_access:  read_only
        .address_space:  global
        .offset:         16
        .size:           8
        .value_kind:     global_buffer
      - .actual_access:  read_only
        .address_space:  global
        .offset:         24
        .size:           8
        .value_kind:     global_buffer
      - .actual_access:  read_only
        .address_space:  global
        .offset:         32
        .size:           8
        .value_kind:     global_buffer
      - .actual_access:  read_only
        .address_space:  global
        .offset:         40
        .size:           8
        .value_kind:     global_buffer
      - .actual_access:  read_only
        .address_space:  global
        .offset:         48
        .size:           8
        .value_kind:     global_buffer
      - .actual_access:  read_only
        .address_space:  global
        .offset:         56
        .size:           8
        .value_kind:     global_buffer
      - .actual_access:  read_only
        .address_space:  global
        .offset:         64
        .size:           8
        .value_kind:     global_buffer
      - .actual_access:  write_only
        .address_space:  global
        .offset:         72
        .size:           8
        .value_kind:     global_buffer
      - .actual_access:  write_only
        .address_space:  global
        .offset:         80
        .size:           8
        .value_kind:     global_buffer
      - .actual_access:  write_only
        .address_space:  global
        .offset:         88
        .size:           8
        .value_kind:     global_buffer
      - .actual_access:  write_only
        .address_space:  global
        .offset:         96
        .size:           8
        .value_kind:     global_buffer
      - .actual_access:  write_only
        .address_space:  global
        .offset:         104
        .size:           8
        .value_kind:     global_buffer
      - .actual_access:  write_only
        .address_space:  global
        .offset:         112
        .size:           8
        .value_kind:     global_buffer
      - .actual_access:  write_only
        .address_space:  global
        .offset:         120
        .size:           8
        .value_kind:     global_buffer
      - .actual_access:  write_only
        .address_space:  global
        .offset:         128
        .size:           8
        .value_kind:     global_buffer
      - .actual_access:  write_only
        .address_space:  global
        .offset:         136
        .size:           8
        .value_kind:     global_buffer
      - .actual_access:  read_only
        .address_space:  global
        .offset:         144
        .size:           8
        .value_kind:     global_buffer
      - .actual_access:  write_only
        .address_space:  global
        .offset:         152
        .size:           8
        .value_kind:     global_buffer
      - .actual_access:  write_only
        .address_space:  global
        .offset:         160
        .size:           8
        .value_kind:     global_buffer
      - .offset:         168
        .size:           4
        .value_kind:     by_value
      - .offset:         172
        .size:           4
        .value_kind:     by_value
      - .offset:         176
        .size:           4
        .value_kind:     by_value
      - .offset:         180
        .size:           4
        .value_kind:     by_value
      - .offset:         184
        .size:           4
        .value_kind:     by_value
      - .offset:         192
        .size:           4
        .value_kind:     hidden_block_count_x
      - .offset:         196
        .size:           4
        .value_kind:     hidden_block_count_y
      - .offset:         200
        .size:           4
        .value_kind:     hidden_block_count_z
      - .offset:         204
        .size:           2
        .value_kind:     hidden_group_size_x
      - .offset:         206
        .size:           2
        .value_kind:     hidden_group_size_y
      - .offset:         208
        .size:           2
        .value_kind:     hidden_group_size_z
      - .offset:         210
        .size:           2
        .value_kind:     hidden_remainder_x
      - .offset:         212
        .size:           2
        .value_kind:     hidden_remainder_y
      - .offset:         214
        .size:           2
        .value_kind:     hidden_remainder_z
      - .offset:         232
        .size:           8
        .value_kind:     hidden_global_offset_x
      - .offset:         240
        .size:           8
        .value_kind:     hidden_global_offset_y
      - .offset:         248
        .size:           8
        .value_kind:     hidden_global_offset_z
      - .offset:         256
        .size:           2
        .value_kind:     hidden_grid_dims
    .group_segment_fixed_size: 1024
    .kernarg_segment_align: 8
    .kernarg_segment_size: 448
    .language:       OpenCL C
    .language_version:
      - 2
      - 0
    .max_flat_workgroup_size: 1024
    .name:           _Z8d2q9_bgkPKfS0_S0_S0_S0_S0_S0_S0_S0_PfS1_S1_S1_S1_S1_S1_S1_S1_PKiS1_Piffiii
    .private_segment_fixed_size: 0
    .sgpr_count:     41
    .sgpr_spill_count: 0
    .symbol:         _Z8d2q9_bgkPKfS0_S0_S0_S0_S0_S0_S0_S0_PfS1_S1_S1_S1_S1_S1_S1_S1_PKiS1_Piffiii.kd
    .uniform_work_group_size: 1
    .uses_dynamic_stack: false
    .vgpr_count:     55
    .vgpr_spill_count: 0
    .wavefront_size: 32
amdhsa.target:   amdgcn-amd-amdhsa--gfx1250
amdhsa.version:
  - 1
  - 2
...

	.end_amdgpu_metadata
